;; amdgpu-corpus repo=ROCm/rocFFT kind=compiled arch=gfx90a opt=O3
	.text
	.amdgcn_target "amdgcn-amd-amdhsa--gfx90a"
	.amdhsa_code_object_version 6
	.protected	bluestein_single_back_len576_dim1_dp_op_CI_CI ; -- Begin function bluestein_single_back_len576_dim1_dp_op_CI_CI
	.globl	bluestein_single_back_len576_dim1_dp_op_CI_CI
	.p2align	8
	.type	bluestein_single_back_len576_dim1_dp_op_CI_CI,@function
bluestein_single_back_len576_dim1_dp_op_CI_CI: ; @bluestein_single_back_len576_dim1_dp_op_CI_CI
; %bb.0:
	s_load_dwordx4 s[0:3], s[4:5], 0x28
	v_mul_u32_u24_e32 v1, 0x2ab, v0
	v_add_u32_sdwa v104, s6, v1 dst_sel:DWORD dst_unused:UNUSED_PAD src0_sel:DWORD src1_sel:WORD_1
	v_mov_b32_e32 v105, 0
	s_waitcnt lgkmcnt(0)
	v_cmp_gt_u64_e32 vcc, s[0:1], v[104:105]
	s_and_saveexec_b64 s[0:1], vcc
	s_cbranch_execz .LBB0_15
; %bb.1:
	s_load_dwordx2 s[14:15], s[4:5], 0x0
	s_load_dwordx2 s[12:13], s[4:5], 0x38
	s_movk_i32 s0, 0x60
	v_mul_lo_u16_sdwa v1, v1, s0 dst_sel:DWORD dst_unused:UNUSED_PAD src0_sel:WORD_1 src1_sel:DWORD
	v_sub_u16_e32 v108, v0, v1
	v_cmp_gt_u16_e64 s[0:1], 36, v108
	v_lshlrev_b32_e32 v105, 4, v108
	s_and_saveexec_b64 s[6:7], s[0:1]
	s_cbranch_execz .LBB0_3
; %bb.2:
	s_load_dwordx2 s[8:9], s[4:5], 0x18
	v_mov_b32_e32 v109, 0x240
	s_waitcnt lgkmcnt(0)
	v_mov_b32_e32 v42, s15
	s_load_dwordx4 s[8:11], s[8:9], 0x0
	s_waitcnt lgkmcnt(0)
	v_mad_u64_u32 v[0:1], s[16:17], s10, v104, 0
	v_mov_b32_e32 v4, v1
	v_mad_u64_u32 v[2:3], s[16:17], s8, v108, 0
	v_mad_u64_u32 v[4:5], s[10:11], s11, v104, v[4:5]
	v_mov_b32_e32 v6, v3
	v_mov_b32_e32 v1, v4
	v_mad_u64_u32 v[6:7], s[10:11], s9, v108, v[6:7]
	v_lshlrev_b64 v[0:1], 4, v[0:1]
	v_mov_b32_e32 v3, v6
	v_mov_b32_e32 v4, s3
	v_add_co_u32_e32 v5, vcc, s2, v0
	v_addc_co_u32_e32 v6, vcc, v4, v1, vcc
	v_lshlrev_b64 v[0:1], 4, v[2:3]
	v_add_co_u32_e32 v4, vcc, v5, v0
	v_addc_co_u32_e32 v5, vcc, v6, v1, vcc
	v_mad_u64_u32 v[40:41], s[2:3], s8, v109, v[4:5]
	s_mul_i32 s2, s9, 0x240
	v_add_u32_e32 v41, s2, v41
	v_mad_u64_u32 v[44:45], s[10:11], s8, v109, v[40:41]
	global_load_dwordx4 v[0:3], v[4:5], off
	v_add_u32_e32 v45, s2, v45
	global_load_dwordx4 v[4:7], v105, s[14:15]
	global_load_dwordx4 v[8:11], v105, s[14:15] offset:576
	global_load_dwordx4 v[12:15], v[40:41], off
	v_mad_u64_u32 v[56:57], s[10:11], s8, v109, v[44:45]
	v_add_co_u32_e32 v130, vcc, s14, v105
	v_add_u32_e32 v57, s2, v57
	global_load_dwordx4 v[16:19], v105, s[14:15] offset:1152
	global_load_dwordx4 v[20:23], v105, s[14:15] offset:1728
	;; [unrolled: 1-line block ×6, first 2 shown]
	v_addc_co_u32_e32 v131, vcc, 0, v42, vcc
	global_load_dwordx4 v[40:43], v[44:45], off
	v_mad_u64_u32 v[60:61], s[10:11], s8, v109, v[56:57]
	v_add_u32_e32 v61, s2, v61
	s_movk_i32 s3, 0x1000
	v_mad_u64_u32 v[64:65], s[10:11], s8, v109, v[60:61]
	v_add_co_u32_e32 v106, vcc, s3, v130
	v_add_u32_e32 v65, s2, v65
	v_addc_co_u32_e32 v107, vcc, 0, v131, vcc
	global_load_dwordx4 v[44:47], v[56:57], off
	global_load_dwordx4 v[48:51], v[106:107], off offset:512
	global_load_dwordx4 v[52:55], v[106:107], off offset:1088
	v_mad_u64_u32 v[68:69], s[10:11], s8, v109, v[64:65]
	global_load_dwordx4 v[56:59], v[60:61], off
	v_add_u32_e32 v69, s2, v69
	global_load_dwordx4 v[60:63], v[64:65], off
	v_mad_u64_u32 v[72:73], s[10:11], s8, v109, v[68:69]
	v_add_u32_e32 v73, s2, v73
	global_load_dwordx4 v[64:67], v[68:69], off
	v_mad_u64_u32 v[76:77], s[10:11], s8, v109, v[72:73]
	;; [unrolled: 3-line block ×6, first 2 shown]
	global_load_dwordx4 v[84:87], v[96:97], off
	global_load_dwordx4 v[88:91], v[106:107], off offset:1664
	global_load_dwordx4 v[92:95], v[106:107], off offset:2240
	v_add_u32_e32 v101, s2, v101
	v_mad_u64_u32 v[118:119], s[10:11], s8, v109, v[100:101]
	v_add_u32_e32 v119, s2, v119
	global_load_dwordx4 v[96:99], v[100:101], off
	v_mad_u64_u32 v[126:127], s[10:11], s8, v109, v[118:119]
	global_load_dwordx4 v[100:103], v[118:119], off
	global_load_dwordx4 v[110:113], v[106:107], off offset:2816
	global_load_dwordx4 v[114:117], v[106:107], off offset:3392
	v_add_u32_e32 v127, s2, v127
	global_load_dwordx4 v[118:121], v[126:127], off
	global_load_dwordx4 v[122:125], v[106:107], off offset:3968
	v_mad_u64_u32 v[106:107], s[8:9], s8, v109, v[126:127]
	v_add_u32_e32 v107, s2, v107
	s_movk_i32 s2, 0x2000
	global_load_dwordx4 v[126:129], v[106:107], off
	v_add_co_u32_e32 v106, vcc, s2, v130
	v_addc_co_u32_e32 v107, vcc, 0, v131, vcc
	global_load_dwordx4 v[130:133], v[106:107], off offset:448
	s_waitcnt vmcnt(30)
	v_mul_f64 v[134:135], v[2:3], v[6:7]
	v_mul_f64 v[6:7], v[0:1], v[6:7]
	v_fmac_f64_e32 v[134:135], v[0:1], v[4:5]
	v_fma_f64 v[136:137], v[2:3], v[4:5], -v[6:7]
	s_waitcnt vmcnt(28)
	v_mul_f64 v[0:1], v[14:15], v[10:11]
	v_mul_f64 v[2:3], v[12:13], v[10:11]
	v_fmac_f64_e32 v[0:1], v[12:13], v[8:9]
	v_fma_f64 v[2:3], v[14:15], v[8:9], -v[2:3]
	ds_write_b128 v105, v[134:137]
	ds_write_b128 v105, v[0:3] offset:576
	s_waitcnt vmcnt(21)
	v_mul_f64 v[0:1], v[42:43], v[18:19]
	v_mul_f64 v[2:3], v[40:41], v[18:19]
	v_fmac_f64_e32 v[0:1], v[40:41], v[16:17]
	v_fma_f64 v[2:3], v[42:43], v[16:17], -v[2:3]
	ds_write_b128 v105, v[0:3] offset:1152
	s_waitcnt vmcnt(20)
	v_mul_f64 v[0:1], v[46:47], v[22:23]
	v_mul_f64 v[2:3], v[44:45], v[22:23]
	v_fmac_f64_e32 v[0:1], v[44:45], v[20:21]
	v_fma_f64 v[2:3], v[46:47], v[20:21], -v[2:3]
	;; [unrolled: 6-line block ×14, first 2 shown]
	ds_write_b128 v105, v[0:3] offset:8640
.LBB0_3:
	s_or_b64 exec, exec, s[6:7]
	s_load_dwordx2 s[6:7], s[4:5], 0x20
	s_load_dwordx2 s[2:3], s[4:5], 0x8
	s_waitcnt lgkmcnt(0)
	s_barrier
	s_waitcnt lgkmcnt(0)
                                        ; implicit-def: $vgpr0_vgpr1
                                        ; implicit-def: $vgpr16_vgpr17
                                        ; implicit-def: $vgpr32_vgpr33
                                        ; implicit-def: $vgpr56_vgpr57
                                        ; implicit-def: $vgpr60_vgpr61
                                        ; implicit-def: $vgpr48_vgpr49
                                        ; implicit-def: $vgpr52_vgpr53
                                        ; implicit-def: $vgpr40_vgpr41
                                        ; implicit-def: $vgpr44_vgpr45
                                        ; implicit-def: $vgpr36_vgpr37
                                        ; implicit-def: $vgpr28_vgpr29
                                        ; implicit-def: $vgpr20_vgpr21
                                        ; implicit-def: $vgpr24_vgpr25
                                        ; implicit-def: $vgpr8_vgpr9
                                        ; implicit-def: $vgpr12_vgpr13
                                        ; implicit-def: $vgpr4_vgpr5
	s_and_saveexec_b64 s[4:5], s[0:1]
	s_cbranch_execz .LBB0_5
; %bb.4:
	ds_read_b128 v[0:3], v105
	ds_read_b128 v[4:7], v105 offset:576
	ds_read_b128 v[12:15], v105 offset:1152
	;; [unrolled: 1-line block ×15, first 2 shown]
.LBB0_5:
	s_or_b64 exec, exec, s[4:5]
	s_waitcnt lgkmcnt(7)
	v_add_f64 v[38:39], v[2:3], -v[38:39]
	s_waitcnt lgkmcnt(3)
	v_add_f64 v[52:53], v[24:25], -v[52:53]
	v_add_f64 v[46:47], v[14:15], -v[46:47]
	s_waitcnt lgkmcnt(1)
	v_add_f64 v[60:61], v[16:17], -v[60:61]
	v_fma_f64 v[24:25], v[24:25], 2.0, -v[52:53]
	v_add_f64 v[44:45], v[12:13], -v[44:45]
	v_add_f64 v[62:63], v[18:19], -v[62:63]
	v_fma_f64 v[16:17], v[16:17], 2.0, -v[60:61]
	v_add_f64 v[32:33], v[4:5], -v[32:33]
	v_add_f64 v[50:51], v[22:23], -v[50:51]
	v_add_f64 v[52:53], v[38:39], v[52:53]
	v_add_f64 v[60:61], v[60:61], v[46:47]
	s_mov_b32 s4, 0x667f3bcd
	v_add_f64 v[36:37], v[0:1], -v[36:37]
	v_fma_f64 v[2:3], v[2:3], 2.0, -v[38:39]
	v_add_f64 v[54:55], v[26:27], -v[54:55]
	v_fma_f64 v[14:15], v[14:15], 2.0, -v[46:47]
	v_fma_f64 v[18:19], v[18:19], 2.0, -v[62:63]
	v_add_f64 v[34:35], v[6:7], -v[34:35]
	v_fma_f64 v[22:23], v[22:23], 2.0, -v[50:51]
	;; [unrolled: 3-line block ×3, first 2 shown]
	v_add_f64 v[50:51], v[32:33], -v[50:51]
	s_mov_b32 s5, 0xbfe6a09e
	v_fma_f64 v[26:27], v[26:27], 2.0, -v[54:55]
	v_fma_f64 v[12:13], v[12:13], 2.0, -v[44:45]
	;; [unrolled: 1-line block ×4, first 2 shown]
	v_add_f64 v[48:49], v[20:21], -v[48:49]
	v_add_f64 v[40:41], v[8:9], -v[40:41]
	s_waitcnt lgkmcnt(0)
	v_add_f64 v[56:57], v[28:29], -v[56:57]
	v_add_f64 v[54:55], v[36:37], -v[54:55]
	v_fma_f64 v[44:45], v[44:45], 2.0, -v[62:63]
	v_fma_f64 v[70:71], v[32:33], 2.0, -v[50:51]
	v_fma_f64 v[32:33], s[4:5], v[46:47], v[38:39]
	s_mov_b32 s9, 0x3fe6a09e
	s_mov_b32 s8, s4
	v_fma_f64 v[0:1], v[0:1], 2.0, -v[36:37]
	v_fma_f64 v[20:21], v[20:21], 2.0, -v[48:49]
	;; [unrolled: 1-line block ×4, first 2 shown]
	v_add_f64 v[26:27], v[2:3], -v[26:27]
	v_fma_f64 v[36:37], v[36:37], 2.0, -v[54:55]
	v_add_f64 v[64:65], v[12:13], -v[16:17]
	v_add_f64 v[22:23], v[6:7], -v[22:23]
	v_fmac_f64_e32 v[32:33], s[8:9], v[44:45]
	v_add_f64 v[42:43], v[10:11], -v[42:43]
	v_add_f64 v[58:59], v[30:31], -v[58:59]
	v_fma_f64 v[12:13], v[12:13], 2.0, -v[64:65]
	v_add_f64 v[20:21], v[4:5], -v[20:21]
	v_fma_f64 v[68:69], v[6:7], 2.0, -v[22:23]
	v_add_f64 v[28:29], v[8:9], -v[28:29]
	v_fma_f64 v[16:17], s[4:5], v[44:45], v[36:37]
	v_fma_f64 v[6:7], v[38:39], 2.0, -v[32:33]
	v_add_f64 v[38:39], v[26:27], v[64:65]
	v_fma_f64 v[64:65], s[8:9], v[62:63], v[54:55]
	v_fma_f64 v[10:11], v[10:11], 2.0, -v[42:43]
	v_fma_f64 v[30:31], v[30:31], 2.0, -v[58:59]
	v_add_f64 v[24:25], v[0:1], -v[24:25]
	v_add_f64 v[18:19], v[14:15], -v[18:19]
	v_fma_f64 v[66:67], v[4:5], 2.0, -v[20:21]
	v_fma_f64 v[74:75], v[8:9], 2.0, -v[28:29]
	v_add_f64 v[58:59], v[40:41], -v[58:59]
	v_fmac_f64_e32 v[16:17], s[4:5], v[46:47]
	v_fmac_f64_e32 v[64:65], s[4:5], v[60:61]
	v_fma_f64 v[14:15], v[14:15], 2.0, -v[18:19]
	v_add_f64 v[48:49], v[48:49], v[34:35]
	v_add_f64 v[30:31], v[10:11], -v[30:31]
	v_add_f64 v[56:57], v[56:57], v[42:43]
	v_fma_f64 v[40:41], v[40:41], 2.0, -v[58:59]
	v_fma_f64 v[4:5], v[36:37], 2.0, -v[16:17]
	v_add_f64 v[36:37], v[24:25], -v[18:19]
	v_fma_f64 v[80:81], s[8:9], v[60:61], v[52:53]
	v_fma_f64 v[18:19], v[54:55], 2.0, -v[64:65]
	v_add_f64 v[54:55], v[66:67], -v[74:75]
	v_fma_f64 v[0:1], v[0:1], 2.0, -v[24:25]
	v_fma_f64 v[72:73], v[34:35], 2.0, -v[48:49]
	;; [unrolled: 1-line block ×5, first 2 shown]
	v_fmac_f64_e32 v[80:81], s[8:9], v[62:63]
	v_fma_f64 v[24:25], v[66:67], 2.0, -v[54:55]
	v_fma_f64 v[66:67], s[4:5], v[40:41], v[70:71]
	s_mov_b32 s16, 0xa6aea964
	v_fma_f64 v[2:3], v[2:3], 2.0, -v[26:27]
	v_fma_f64 v[34:35], v[52:53], 2.0, -v[80:81]
	v_add_f64 v[52:53], v[68:69], -v[76:77]
	v_fma_f64 v[74:75], s[4:5], v[42:43], v[72:73]
	v_fmac_f64_e32 v[66:67], s[4:5], v[42:43]
	v_fma_f64 v[82:83], s[8:9], v[58:59], v[50:51]
	v_fma_f64 v[84:85], s[8:9], v[56:57], v[48:49]
	s_mov_b32 s10, 0xcf328d46
	s_mov_b32 s17, 0xbfd87de2
	;; [unrolled: 1-line block ×4, first 2 shown]
	v_add_f64 v[8:9], v[0:1], -v[12:13]
	v_add_f64 v[12:13], v[2:3], -v[14:15]
	v_fma_f64 v[14:15], v[26:27], 2.0, -v[38:39]
	v_fma_f64 v[26:27], v[68:69], 2.0, -v[52:53]
	v_fmac_f64_e32 v[74:75], s[8:9], v[40:41]
	v_add_f64 v[30:31], v[20:21], -v[30:31]
	v_add_f64 v[28:29], v[28:29], v[22:23]
	v_fmac_f64_e32 v[82:83], s[4:5], v[56:57]
	v_fmac_f64_e32 v[84:85], s[8:9], v[58:59]
	s_mov_b32 s11, 0xbfed906b
	s_mov_b32 s21, 0x3fed906b
	;; [unrolled: 1-line block ×3, first 2 shown]
	v_fma_f64 v[68:69], s[18:19], v[66:67], v[16:17]
	v_fma_f64 v[40:41], v[70:71], 2.0, -v[66:67]
	v_fma_f64 v[42:43], v[72:73], 2.0, -v[74:75]
	;; [unrolled: 1-line block ×6, first 2 shown]
	v_fma_f64 v[70:71], s[18:19], v[74:75], v[32:33]
	v_fmac_f64_e32 v[68:69], s[10:11], v[74:75]
	v_fma_f64 v[72:73], s[8:9], v[30:31], v[36:37]
	v_fma_f64 v[74:75], s[8:9], v[28:29], v[38:39]
	;; [unrolled: 1-line block ×4, first 2 shown]
	v_fma_f64 v[0:1], v[0:1], 2.0, -v[8:9]
	v_fma_f64 v[2:3], v[2:3], 2.0, -v[12:13]
	v_fma_f64 v[44:45], s[10:11], v[40:41], v[4:5]
	v_fma_f64 v[46:47], s[10:11], v[42:43], v[6:7]
	;; [unrolled: 1-line block ×6, first 2 shown]
	v_fmac_f64_e32 v[72:73], s[4:5], v[28:29]
	v_fmac_f64_e32 v[74:75], s[8:9], v[30:31]
	;; [unrolled: 1-line block ×4, first 2 shown]
	v_add_f64 v[24:25], v[0:1], -v[24:25]
	v_add_f64 v[26:27], v[2:3], -v[26:27]
	v_fmac_f64_e32 v[44:45], s[16:17], v[42:43]
	v_fmac_f64_e32 v[46:47], s[18:19], v[40:41]
	;; [unrolled: 1-line block ×6, first 2 shown]
	v_add_f64 v[52:53], v[8:9], -v[52:53]
	v_add_f64 v[54:55], v[12:13], v[54:55]
	v_fmac_f64_e32 v[70:71], s[20:21], v[66:67]
	v_fma_f64 v[20:21], v[36:37], 2.0, -v[72:73]
	v_fma_f64 v[22:23], v[38:39], 2.0, -v[74:75]
	;; [unrolled: 1-line block ×4, first 2 shown]
	v_lshlrev_b16_e32 v109, 4, v108
	s_barrier
	s_and_saveexec_b64 s[4:5], s[0:1]
	s_cbranch_execz .LBB0_7
; %bb.6:
	v_fma_f64 v[40:41], v[8:9], 2.0, -v[52:53]
	v_fma_f64 v[2:3], v[2:3], 2.0, -v[26:27]
	;; [unrolled: 1-line block ×3, first 2 shown]
	v_lshlrev_b32_e32 v8, 4, v109
	v_fma_f64 v[38:39], v[32:33], 2.0, -v[70:71]
	v_fma_f64 v[36:37], v[16:17], 2.0, -v[68:69]
	;; [unrolled: 1-line block ×9, first 2 shown]
	ds_write_b128 v8, v[0:3]
	ds_write_b128 v8, v[4:7] offset:16
	ds_write_b128 v8, v[10:13] offset:32
	;; [unrolled: 1-line block ×15, first 2 shown]
.LBB0_7:
	s_or_b64 exec, exec, s[4:5]
	v_and_b32_e32 v102, 15, v108
	s_movk_i32 s10, 0x50
	v_pk_mov_b32 v[36:37], s[2:3], s[2:3] op_sel:[0,1]
	v_mad_u64_u32 v[42:43], s[2:3], v102, s10, v[36:37]
	s_load_dwordx4 s[4:7], s[6:7], 0x0
	s_waitcnt lgkmcnt(0)
	s_barrier
	ds_read_b128 v[32:35], v105
	ds_read_b128 v[16:19], v105 offset:1536
	ds_read_b128 v[38:41], v105 offset:3072
	;; [unrolled: 1-line block ×5, first 2 shown]
	global_load_dwordx4 v[0:3], v[42:43], off offset:48
	global_load_dwordx4 v[4:7], v[42:43], off offset:32
	;; [unrolled: 1-line block ×3, first 2 shown]
	global_load_dwordx4 v[12:15], v[42:43], off
	s_mov_b32 s8, 0xe8584caa
	s_mov_b32 s9, 0x3febb67a
	;; [unrolled: 1-line block ×4, first 2 shown]
	s_waitcnt vmcnt(0) lgkmcnt(4)
	v_mul_f64 v[84:85], v[18:19], v[14:15]
	v_fma_f64 v[84:85], v[16:17], v[12:13], -v[84:85]
	v_mul_f64 v[86:87], v[16:17], v[14:15]
	s_waitcnt lgkmcnt(3)
	v_mul_f64 v[16:17], v[40:41], v[10:11]
	v_fma_f64 v[88:89], v[38:39], v[8:9], -v[16:17]
	v_mul_f64 v[38:39], v[38:39], v[10:11]
	s_waitcnt lgkmcnt(2)
	v_mul_f64 v[16:17], v[50:51], v[6:7]
	v_fmac_f64_e32 v[38:39], v[40:41], v[8:9]
	v_fma_f64 v[40:41], v[48:49], v[4:5], -v[16:17]
	v_mul_f64 v[48:49], v[48:49], v[6:7]
	s_waitcnt lgkmcnt(1)
	v_mul_f64 v[16:17], v[66:67], v[2:3]
	v_fmac_f64_e32 v[86:87], v[18:19], v[12:13]
	v_fmac_f64_e32 v[48:49], v[50:51], v[4:5]
	v_fma_f64 v[50:51], v[64:65], v[0:1], -v[16:17]
	global_load_dwordx4 v[16:19], v[42:43], off offset:64
	v_mul_f64 v[64:65], v[64:65], v[2:3]
	v_fmac_f64_e32 v[64:65], v[66:67], v[0:1]
	s_waitcnt lgkmcnt(0)
	s_barrier
	s_waitcnt vmcnt(0)
	v_mul_f64 v[66:67], v[80:81], v[18:19]
	v_mul_f64 v[42:43], v[82:83], v[18:19]
	v_fmac_f64_e32 v[66:67], v[82:83], v[16:17]
	v_add_f64 v[82:83], v[88:89], v[50:51]
	v_fma_f64 v[42:43], v[80:81], v[16:17], -v[42:43]
	v_add_f64 v[80:81], v[32:33], v[88:89]
	v_fmac_f64_e32 v[32:33], -0.5, v[82:83]
	v_add_f64 v[82:83], v[38:39], -v[64:65]
	v_fma_f64 v[90:91], s[8:9], v[82:83], v[32:33]
	v_fmac_f64_e32 v[32:33], s[2:3], v[82:83]
	v_add_f64 v[82:83], v[34:35], v[38:39]
	v_add_f64 v[38:39], v[38:39], v[64:65]
	v_fmac_f64_e32 v[34:35], -0.5, v[38:39]
	v_add_f64 v[38:39], v[88:89], -v[50:51]
	v_fma_f64 v[88:89], s[2:3], v[38:39], v[34:35]
	v_fmac_f64_e32 v[34:35], s[8:9], v[38:39]
	v_add_f64 v[38:39], v[84:85], v[40:41]
	v_add_f64 v[92:93], v[38:39], v[42:43]
	;; [unrolled: 1-line block ×3, first 2 shown]
	v_fmac_f64_e32 v[84:85], -0.5, v[38:39]
	v_add_f64 v[38:39], v[48:49], -v[66:67]
	v_add_f64 v[80:81], v[80:81], v[50:51]
	v_fma_f64 v[50:51], s[8:9], v[38:39], v[84:85]
	v_fmac_f64_e32 v[84:85], s[2:3], v[38:39]
	v_add_f64 v[38:39], v[86:87], v[48:49]
	v_add_f64 v[94:95], v[38:39], v[66:67]
	;; [unrolled: 1-line block ×3, first 2 shown]
	v_fmac_f64_e32 v[86:87], -0.5, v[38:39]
	v_add_f64 v[38:39], v[40:41], -v[42:43]
	v_fma_f64 v[42:43], s[2:3], v[38:39], v[86:87]
	v_fmac_f64_e32 v[86:87], s[8:9], v[38:39]
	v_mul_f64 v[100:101], v[50:51], s[2:3]
	v_mul_f64 v[96:97], v[42:43], s[8:9]
	v_fmac_f64_e32 v[100:101], 0.5, v[42:43]
	v_mul_f64 v[42:43], v[86:87], -0.5
	v_fmac_f64_e32 v[42:43], s[2:3], v[84:85]
	v_add_f64 v[66:67], v[34:35], v[42:43]
	v_add_f64 v[34:35], v[34:35], -v[42:43]
	v_lshrrev_b32_e32 v42, 4, v108
	v_mul_f64 v[98:99], v[84:85], -0.5
	v_mul_u32_u24_e32 v42, 0x60, v42
	v_add_f64 v[82:83], v[82:83], v[64:65]
	v_fmac_f64_e32 v[96:97], 0.5, v[50:51]
	v_fmac_f64_e32 v[98:99], s[8:9], v[86:87]
	v_or_b32_e32 v42, v42, v102
	v_add_f64 v[38:39], v[80:81], v[92:93]
	v_add_f64 v[48:49], v[90:91], v[96:97]
	;; [unrolled: 1-line block ×5, first 2 shown]
	v_add_f64 v[80:81], v[80:81], -v[92:93]
	v_add_f64 v[84:85], v[90:91], -v[96:97]
	;; [unrolled: 1-line block ×5, first 2 shown]
	v_lshlrev_b32_e32 v110, 4, v42
	v_mad_u64_u32 v[96:97], s[10:11], v108, s10, v[36:37]
	ds_write_b128 v110, v[38:41]
	ds_write_b128 v110, v[48:51] offset:256
	ds_write_b128 v110, v[64:67] offset:512
	;; [unrolled: 1-line block ×5, first 2 shown]
	s_waitcnt lgkmcnt(0)
	s_barrier
	ds_read_b128 v[100:103], v105
	ds_read_b128 v[64:67], v105 offset:1536
	ds_read_b128 v[80:83], v105 offset:3072
	ds_read_b128 v[84:87], v105 offset:4608
	ds_read_b128 v[88:91], v105 offset:6144
	ds_read_b128 v[92:95], v105 offset:7680
	global_load_dwordx4 v[32:35], v[96:97], off offset:1328
	global_load_dwordx4 v[36:39], v[96:97], off offset:1312
	;; [unrolled: 1-line block ×4, first 2 shown]
	s_waitcnt vmcnt(0) lgkmcnt(4)
	v_mul_f64 v[98:99], v[66:67], v[50:51]
	v_fma_f64 v[98:99], v[64:65], v[48:49], -v[98:99]
	v_mul_f64 v[106:107], v[64:65], v[50:51]
	s_waitcnt lgkmcnt(3)
	v_mul_f64 v[64:65], v[82:83], v[42:43]
	v_fma_f64 v[112:113], v[80:81], v[40:41], -v[64:65]
	v_mul_f64 v[80:81], v[80:81], v[42:43]
	s_waitcnt lgkmcnt(2)
	v_mul_f64 v[64:65], v[86:87], v[38:39]
	v_fmac_f64_e32 v[80:81], v[82:83], v[40:41]
	v_fma_f64 v[82:83], v[84:85], v[36:37], -v[64:65]
	v_mul_f64 v[84:85], v[84:85], v[38:39]
	s_waitcnt lgkmcnt(1)
	v_mul_f64 v[64:65], v[90:91], v[34:35]
	v_fmac_f64_e32 v[106:107], v[66:67], v[48:49]
	v_fmac_f64_e32 v[84:85], v[86:87], v[36:37]
	v_fma_f64 v[86:87], v[88:89], v[32:33], -v[64:65]
	global_load_dwordx4 v[64:67], v[96:97], off offset:1344
	v_mul_f64 v[88:89], v[88:89], v[34:35]
	v_fmac_f64_e32 v[88:89], v[90:91], v[32:33]
	v_add_f64 v[96:97], v[112:113], v[86:87]
	s_waitcnt vmcnt(0) lgkmcnt(0)
	v_mul_f64 v[90:91], v[94:95], v[66:67]
	v_fma_f64 v[90:91], v[92:93], v[64:65], -v[90:91]
	v_mul_f64 v[92:93], v[92:93], v[66:67]
	v_fmac_f64_e32 v[92:93], v[94:95], v[64:65]
	v_add_f64 v[94:95], v[100:101], v[112:113]
	v_fmac_f64_e32 v[100:101], -0.5, v[96:97]
	v_add_f64 v[96:97], v[80:81], -v[88:89]
	v_fma_f64 v[114:115], s[8:9], v[96:97], v[100:101]
	v_fmac_f64_e32 v[100:101], s[2:3], v[96:97]
	v_add_f64 v[96:97], v[102:103], v[80:81]
	v_add_f64 v[80:81], v[80:81], v[88:89]
	v_fmac_f64_e32 v[102:103], -0.5, v[80:81]
	v_add_f64 v[80:81], v[112:113], -v[86:87]
	v_fma_f64 v[112:113], s[2:3], v[80:81], v[102:103]
	v_fmac_f64_e32 v[102:103], s[8:9], v[80:81]
	v_add_f64 v[80:81], v[98:99], v[82:83]
	v_add_f64 v[116:117], v[96:97], v[88:89]
	;; [unrolled: 1-line block ×4, first 2 shown]
	v_fmac_f64_e32 v[98:99], -0.5, v[80:81]
	v_add_f64 v[80:81], v[84:85], -v[92:93]
	v_add_f64 v[94:95], v[94:95], v[86:87]
	v_fma_f64 v[86:87], s[8:9], v[80:81], v[98:99]
	v_fmac_f64_e32 v[98:99], s[2:3], v[80:81]
	v_add_f64 v[80:81], v[106:107], v[84:85]
	v_add_f64 v[118:119], v[80:81], v[92:93]
	;; [unrolled: 1-line block ×3, first 2 shown]
	v_fmac_f64_e32 v[106:107], -0.5, v[80:81]
	v_add_f64 v[80:81], v[82:83], -v[90:91]
	v_fma_f64 v[90:91], s[2:3], v[80:81], v[106:107]
	v_fmac_f64_e32 v[106:107], s[8:9], v[80:81]
	v_mul_f64 v[120:121], v[98:99], -0.5
	v_mul_f64 v[92:93], v[90:91], s[8:9]
	v_fmac_f64_e32 v[120:121], s[8:9], v[106:107]
	v_mul_f64 v[122:123], v[86:87], s[2:3]
	v_mul_f64 v[106:107], v[106:107], -0.5
	v_fmac_f64_e32 v[92:93], 0.5, v[86:87]
	v_fmac_f64_e32 v[122:123], 0.5, v[90:91]
	v_fmac_f64_e32 v[106:107], s[2:3], v[98:99]
	v_add_f64 v[80:81], v[94:95], v[96:97]
	v_add_f64 v[84:85], v[114:115], v[92:93]
	v_add_f64 v[88:89], v[100:101], v[120:121]
	v_add_f64 v[82:83], v[116:117], v[118:119]
	v_add_f64 v[86:87], v[112:113], v[122:123]
	v_add_f64 v[90:91], v[102:103], v[106:107]
	v_add_f64 v[96:97], v[94:95], -v[96:97]
	v_add_f64 v[92:93], v[114:115], -v[92:93]
	;; [unrolled: 1-line block ×6, first 2 shown]
	ds_write_b128 v105, v[80:83]
	ds_write_b128 v105, v[84:87] offset:1536
	ds_write_b128 v105, v[88:91] offset:3072
	;; [unrolled: 1-line block ×5, first 2 shown]
	s_waitcnt lgkmcnt(0)
	s_barrier
	s_and_saveexec_b64 s[2:3], s[0:1]
	s_cbranch_execz .LBB0_9
; %bb.8:
	v_add_co_u32_e32 v111, vcc, s14, v105
	v_mov_b32_e32 v106, s15
	v_addc_co_u32_e32 v112, vcc, 0, v106, vcc
	v_add_co_u32_e32 v106, vcc, 0x2400, v111
	v_addc_co_u32_e32 v107, vcc, 0, v112, vcc
	v_add_co_u32_e32 v118, vcc, 0x2000, v111
	v_addc_co_u32_e32 v119, vcc, 0, v112, vcc
	global_load_dwordx4 v[118:121], v[118:119], off offset:1024
	ds_read_b128 v[114:117], v105
	s_movk_i32 s8, 0x3000
	s_waitcnt vmcnt(0) lgkmcnt(0)
	v_mul_f64 v[122:123], v[116:117], v[120:121]
	v_mul_f64 v[124:125], v[114:115], v[120:121]
	v_fma_f64 v[122:123], v[114:115], v[118:119], -v[122:123]
	v_fmac_f64_e32 v[124:125], v[116:117], v[118:119]
	global_load_dwordx4 v[118:121], v[106:107], off offset:576
	ds_read_b128 v[114:117], v105 offset:576
	ds_write_b128 v105, v[122:125]
	s_waitcnt vmcnt(0) lgkmcnt(1)
	v_mul_f64 v[122:123], v[116:117], v[120:121]
	v_mul_f64 v[124:125], v[114:115], v[120:121]
	v_fma_f64 v[122:123], v[114:115], v[118:119], -v[122:123]
	v_fmac_f64_e32 v[124:125], v[116:117], v[118:119]
	global_load_dwordx4 v[118:121], v[106:107], off offset:1152
	ds_read_b128 v[114:117], v105 offset:1152
	ds_write_b128 v105, v[122:125] offset:576
	s_waitcnt vmcnt(0) lgkmcnt(1)
	v_mul_f64 v[122:123], v[116:117], v[120:121]
	v_mul_f64 v[124:125], v[114:115], v[120:121]
	v_fma_f64 v[122:123], v[114:115], v[118:119], -v[122:123]
	v_fmac_f64_e32 v[124:125], v[116:117], v[118:119]
	global_load_dwordx4 v[118:121], v[106:107], off offset:1728
	ds_read_b128 v[114:117], v105 offset:1728
	ds_write_b128 v105, v[122:125] offset:1152
	;; [unrolled: 8-line block ×6, first 2 shown]
	s_waitcnt vmcnt(0) lgkmcnt(1)
	v_mul_f64 v[106:107], v[116:117], v[120:121]
	v_fma_f64 v[122:123], v[114:115], v[118:119], -v[106:107]
	v_add_co_u32_e32 v106, vcc, s8, v111
	v_mul_f64 v[124:125], v[114:115], v[120:121]
	v_addc_co_u32_e32 v107, vcc, 0, v112, vcc
	v_fmac_f64_e32 v[124:125], v[116:117], v[118:119]
	global_load_dwordx4 v[118:121], v[106:107], off offset:1536
	ds_read_b128 v[114:117], v105 offset:4608
	ds_write_b128 v105, v[122:125] offset:4032
	s_movk_i32 s8, 0x4000
	s_waitcnt vmcnt(0) lgkmcnt(1)
	v_mul_f64 v[122:123], v[116:117], v[120:121]
	v_mul_f64 v[124:125], v[114:115], v[120:121]
	v_fma_f64 v[122:123], v[114:115], v[118:119], -v[122:123]
	v_fmac_f64_e32 v[124:125], v[116:117], v[118:119]
	global_load_dwordx4 v[118:121], v[106:107], off offset:2112
	ds_read_b128 v[114:117], v105 offset:5184
	ds_write_b128 v105, v[122:125] offset:4608
	s_waitcnt vmcnt(0) lgkmcnt(1)
	v_mul_f64 v[122:123], v[116:117], v[120:121]
	v_mul_f64 v[124:125], v[114:115], v[120:121]
	v_fma_f64 v[122:123], v[114:115], v[118:119], -v[122:123]
	v_fmac_f64_e32 v[124:125], v[116:117], v[118:119]
	global_load_dwordx4 v[118:121], v[106:107], off offset:2688
	ds_read_b128 v[114:117], v105 offset:5760
	ds_write_b128 v105, v[122:125] offset:5184
	;; [unrolled: 8-line block ×4, first 2 shown]
	s_waitcnt vmcnt(0) lgkmcnt(1)
	v_mul_f64 v[106:107], v[116:117], v[120:121]
	v_fma_f64 v[122:123], v[114:115], v[118:119], -v[106:107]
	v_add_co_u32_e32 v106, vcc, s8, v111
	v_mul_f64 v[124:125], v[114:115], v[120:121]
	v_addc_co_u32_e32 v107, vcc, 0, v112, vcc
	v_fmac_f64_e32 v[124:125], v[116:117], v[118:119]
	global_load_dwordx4 v[118:121], v[106:107], off offset:320
	ds_read_b128 v[114:117], v105 offset:7488
	ds_write_b128 v105, v[122:125] offset:6912
	s_waitcnt vmcnt(0) lgkmcnt(1)
	v_mul_f64 v[112:113], v[116:117], v[120:121]
	v_fma_f64 v[112:113], v[114:115], v[118:119], -v[112:113]
	v_mul_f64 v[114:115], v[114:115], v[120:121]
	v_fmac_f64_e32 v[114:115], v[116:117], v[118:119]
	global_load_dwordx4 v[116:119], v[106:107], off offset:896
	ds_write_b128 v105, v[112:115] offset:7488
	ds_read_b128 v[112:115], v105 offset:8064
	s_waitcnt vmcnt(0) lgkmcnt(0)
	v_mul_f64 v[120:121], v[114:115], v[118:119]
	v_mul_f64 v[122:123], v[112:113], v[118:119]
	v_fma_f64 v[120:121], v[112:113], v[116:117], -v[120:121]
	v_fmac_f64_e32 v[122:123], v[114:115], v[116:117]
	global_load_dwordx4 v[116:119], v[106:107], off offset:1472
	ds_read_b128 v[112:115], v105 offset:8640
	ds_write_b128 v105, v[120:123] offset:8064
	s_waitcnt vmcnt(0) lgkmcnt(1)
	v_mul_f64 v[106:107], v[114:115], v[118:119]
	v_mul_f64 v[122:123], v[112:113], v[118:119]
	v_fma_f64 v[120:121], v[112:113], v[116:117], -v[106:107]
	v_fmac_f64_e32 v[122:123], v[114:115], v[116:117]
	ds_write_b128 v105, v[120:123] offset:8640
.LBB0_9:
	s_or_b64 exec, exec, s[2:3]
	s_waitcnt lgkmcnt(0)
	s_barrier
	s_and_saveexec_b64 s[2:3], s[0:1]
	s_cbranch_execz .LBB0_11
; %bb.10:
	ds_read_b128 v[80:83], v105
	ds_read_b128 v[84:87], v105 offset:576
	ds_read_b128 v[88:91], v105 offset:1152
	;; [unrolled: 1-line block ×15, first 2 shown]
.LBB0_11:
	s_or_b64 exec, exec, s[2:3]
	s_waitcnt lgkmcnt(0)
	s_barrier
	s_and_saveexec_b64 s[2:3], s[0:1]
	s_cbranch_execz .LBB0_13
; %bb.12:
	v_add_f64 v[72:73], v[20:21], -v[72:73]
	v_add_f64 v[56:57], v[88:89], -v[56:57]
	;; [unrolled: 1-line block ×5, first 2 shown]
	v_fma_f64 v[88:89], v[88:89], 2.0, -v[56:57]
	v_fma_f64 v[20:21], v[20:21], 2.0, -v[72:73]
	v_add_f64 v[106:107], v[58:59], -v[72:73]
	v_add_f64 v[76:77], v[28:29], -v[76:77]
	v_add_f64 v[60:61], v[96:97], -v[60:61]
	v_add_f64 v[130:131], v[84:85], -v[44:45]
	v_add_f64 v[72:73], v[88:89], -v[20:21]
	v_fma_f64 v[86:87], v[86:87], 2.0, -v[122:123]
	v_fma_f64 v[20:21], v[102:103], 2.0, -v[70:71]
	v_add_f64 v[62:63], v[98:99], -v[62:63]
	v_add_f64 v[78:79], v[30:31], -v[78:79]
	v_add_f64 v[132:133], v[70:71], v[130:131]
	v_add_f64 v[102:103], v[86:87], -v[20:21]
	v_fma_f64 v[70:71], v[96:97], 2.0, -v[60:61]
	v_fma_f64 v[20:21], v[28:29], 2.0, -v[76:77]
	v_add_f64 v[120:121], v[62:63], -v[76:77]
	v_add_f64 v[68:69], v[100:101], -v[68:69]
	;; [unrolled: 1-line block ×3, first 2 shown]
	v_fma_f64 v[98:99], v[98:99], 2.0, -v[62:63]
	v_fma_f64 v[20:21], v[30:31], 2.0, -v[78:79]
	v_add_f64 v[112:113], v[82:83], -v[26:27]
	v_add_f64 v[52:53], v[92:93], -v[52:53]
	s_mov_b32 s8, 0x667f3bcd
	v_add_f64 v[74:75], v[22:23], -v[74:75]
	v_add_f64 v[128:129], v[78:79], v[60:61]
	v_add_f64 v[78:79], v[98:99], -v[20:21]
	v_fma_f64 v[84:85], v[84:85], 2.0, -v[130:131]
	v_fma_f64 v[20:21], v[100:101], 2.0, -v[68:69]
	v_add_f64 v[114:115], v[112:113], -v[52:53]
	s_mov_b32 s9, 0x3fe6a09e
	v_add_f64 v[124:125], v[122:123], -v[68:69]
	v_add_f64 v[54:55], v[94:95], -v[54:55]
	;; [unrolled: 1-line block ×4, first 2 shown]
	v_fma_f64 v[68:69], v[90:91], 2.0, -v[58:59]
	v_fma_f64 v[20:21], v[22:23], 2.0, -v[74:75]
	v_fma_f64 v[116:117], s[8:9], v[106:107], v[114:115]
	v_add_f64 v[118:119], v[74:75], v[56:57]
	s_mov_b32 s11, 0xbfe6a09e
	s_mov_b32 s10, s8
	v_add_f64 v[138:139], v[136:137], v[54:55]
	v_add_f64 v[74:75], v[68:69], -v[20:21]
	v_fma_f64 v[80:81], v[80:81], 2.0, -v[136:137]
	v_fma_f64 v[20:21], v[92:93], 2.0, -v[52:53]
	v_fmac_f64_e32 v[116:117], s[10:11], v[118:119]
	v_fma_f64 v[134:135], s[8:9], v[128:129], v[132:133]
	v_fma_f64 v[140:141], s[8:9], v[118:119], v[138:139]
	v_fma_f64 v[82:83], v[82:83], 2.0, -v[112:113]
	v_fma_f64 v[54:55], v[94:95], 2.0, -v[54:55]
	v_add_f64 v[90:91], v[80:81], -v[20:21]
	v_fma_f64 v[20:21], v[58:59], 2.0, -v[106:107]
	v_fma_f64 v[56:57], v[56:57], 2.0, -v[118:119]
	;; [unrolled: 1-line block ×4, first 2 shown]
	v_fma_f64 v[126:127], s[8:9], v[120:121], v[124:125]
	v_fmac_f64_e32 v[134:135], s[8:9], v[120:121]
	v_add_f64 v[94:95], v[82:83], -v[54:55]
	v_fma_f64 v[120:121], s[10:11], v[58:59], v[118:119]
	v_fma_f64 v[60:61], v[60:61], 2.0, -v[128:129]
	v_fma_f64 v[122:123], v[130:131], 2.0, -v[132:133]
	v_fmac_f64_e32 v[126:127], s[10:11], v[128:129]
	v_fmac_f64_e32 v[120:121], s[10:11], v[60:61]
	v_fma_f64 v[128:129], s[10:11], v[60:61], v[122:123]
	v_fma_f64 v[146:147], v[82:83], 2.0, -v[94:95]
	v_fma_f64 v[60:61], v[68:69], 2.0, -v[74:75]
	v_add_f64 v[148:149], v[146:147], -v[60:61]
	v_fma_f64 v[150:151], v[84:85], 2.0, -v[100:101]
	v_fma_f64 v[60:61], v[70:71], 2.0, -v[76:77]
	s_mov_b32 s20, 0xcf328d46
	v_add_f64 v[142:143], v[94:95], -v[72:73]
	v_add_f64 v[96:97], v[102:103], -v[76:77]
	;; [unrolled: 1-line block ×3, first 2 shown]
	v_fma_f64 v[60:61], v[88:89], 2.0, -v[72:73]
	v_fma_f64 v[72:73], v[114:115], 2.0, -v[116:117]
	;; [unrolled: 1-line block ×3, first 2 shown]
	s_mov_b32 s21, 0x3fed906b
	v_fmac_f64_e32 v[140:141], s[8:9], v[106:107]
	v_add_f64 v[92:93], v[90:91], v[74:75]
	s_mov_b32 s23, 0xbfed906b
	s_mov_b32 s22, s20
	v_fma_f64 v[154:155], v[80:81], 2.0, -v[90:91]
	v_fma_f64 v[74:75], s[16:17], v[76:77], v[72:73]
	v_fma_f64 v[80:81], v[132:133], 2.0, -v[134:135]
	v_fmac_f64_e32 v[74:75], s[22:23], v[80:81]
	v_fma_f64 v[82:83], v[138:139], 2.0, -v[140:141]
	v_add_f64 v[144:145], v[78:79], v[100:101]
	v_add_f64 v[156:157], v[154:155], -v[60:61]
	v_fma_f64 v[60:61], v[98:99], 2.0, -v[78:79]
	v_fma_f64 v[78:79], v[72:73], 2.0, -v[74:75]
	v_fma_f64 v[72:73], s[16:17], v[80:81], v[82:83]
	v_fmac_f64_e32 v[72:73], s[20:21], v[76:77]
	v_fma_f64 v[80:81], v[94:95], 2.0, -v[142:143]
	v_fma_f64 v[84:85], v[102:103], 2.0, -v[96:97]
	;; [unrolled: 1-line block ×4, first 2 shown]
	v_fma_f64 v[82:83], s[10:11], v[84:85], v[80:81]
	v_fma_f64 v[88:89], v[100:101], 2.0, -v[144:145]
	v_fma_f64 v[52:53], s[8:9], v[144:145], v[92:93]
	v_fma_f64 v[106:107], s[10:11], v[20:21], v[112:113]
	v_fmac_f64_e32 v[82:83], s[10:11], v[88:89]
	v_fma_f64 v[90:91], v[90:91], 2.0, -v[92:93]
	v_fmac_f64_e32 v[52:53], s[8:9], v[96:97]
	v_fmac_f64_e32 v[106:107], s[10:11], v[56:57]
	v_fma_f64 v[130:131], v[136:137], 2.0, -v[138:139]
	v_fma_f64 v[158:159], v[86:87], 2.0, -v[102:103]
	;; [unrolled: 1-line block ×3, first 2 shown]
	v_fma_f64 v[80:81], s[10:11], v[88:89], v[90:91]
	v_fma_f64 v[28:29], v[92:93], 2.0, -v[52:53]
	v_fmac_f64_e32 v[128:129], s[8:9], v[58:59]
	v_fma_f64 v[136:137], s[10:11], v[56:57], v[130:131]
	v_fmac_f64_e32 v[80:81], s[8:9], v[84:85]
	v_fma_f64 v[88:89], v[112:113], 2.0, -v[106:107]
	v_fma_f64 v[92:93], v[118:119], 2.0, -v[120:121]
	v_fma_f64 v[54:55], s[8:9], v[96:97], v[142:143]
	v_fmac_f64_e32 v[136:137], s[8:9], v[20:21]
	v_fma_f64 v[84:85], v[90:91], 2.0, -v[80:81]
	v_fma_f64 v[90:91], s[22:23], v[92:93], v[88:89]
	v_fma_f64 v[96:97], v[122:123], 2.0, -v[128:129]
	v_add_f64 v[98:99], v[158:159], -v[60:61]
	v_fmac_f64_e32 v[90:91], s[16:17], v[96:97]
	v_fma_f64 v[100:101], v[130:131], 2.0, -v[136:137]
	s_mov_b32 s18, s16
	v_add_f64 v[60:61], v[156:157], v[98:99]
	v_fma_f64 v[94:95], v[88:89], 2.0, -v[90:91]
	v_fma_f64 v[88:89], s[22:23], v[96:97], v[100:101]
	v_fma_f64 v[96:97], v[146:147], 2.0, -v[148:149]
	v_fma_f64 v[98:99], v[158:159], 2.0, -v[98:99]
	v_fmac_f64_e32 v[88:89], s[18:19], v[92:93]
	v_add_f64 v[98:99], v[96:97], -v[98:99]
	v_fma_f64 v[22:23], s[18:19], v[120:121], v[106:107]
	v_fma_f64 v[92:93], v[100:101], 2.0, -v[88:89]
	v_fma_f64 v[102:103], v[96:97], 2.0, -v[98:99]
	;; [unrolled: 1-line block ×4, first 2 shown]
	v_fma_f64 v[26:27], s[20:21], v[126:127], v[116:117]
	v_fma_f64 v[24:25], s[20:21], v[134:135], v[140:141]
	v_fmac_f64_e32 v[22:23], s[22:23], v[128:129]
	v_fma_f64 v[20:21], s[18:19], v[128:129], v[136:137]
	v_add_f64 v[96:97], v[100:101], -v[96:97]
	v_fmac_f64_e32 v[26:27], s[16:17], v[134:135]
	v_fmac_f64_e32 v[24:25], s[18:19], v[126:127]
	;; [unrolled: 1-line block ×3, first 2 shown]
	v_fma_f64 v[58:59], v[106:107], 2.0, -v[22:23]
	v_fmac_f64_e32 v[20:21], s[20:21], v[120:121]
	v_add_f64 v[62:63], v[148:149], -v[152:153]
	v_fma_f64 v[100:101], v[100:101], 2.0, -v[96:97]
	v_lshlrev_b32_e32 v106, 4, v109
	v_fma_f64 v[46:47], v[116:117], 2.0, -v[26:27]
	v_fma_f64 v[44:45], v[140:141], 2.0, -v[24:25]
	;; [unrolled: 1-line block ×6, first 2 shown]
	ds_write_b128 v106, v[100:103]
	ds_write_b128 v106, v[92:95] offset:16
	ds_write_b128 v106, v[84:87] offset:32
	;; [unrolled: 1-line block ×15, first 2 shown]
.LBB0_13:
	s_or_b64 exec, exec, s[2:3]
	s_waitcnt lgkmcnt(0)
	s_barrier
	ds_read_b128 v[20:23], v105
	ds_read_b128 v[24:27], v105 offset:1536
	ds_read_b128 v[28:31], v105 offset:3072
	;; [unrolled: 1-line block ×5, first 2 shown]
	s_waitcnt lgkmcnt(4)
	v_mul_f64 v[60:61], v[14:15], v[26:27]
	v_mul_f64 v[14:15], v[14:15], v[24:25]
	v_fmac_f64_e32 v[60:61], v[12:13], v[24:25]
	v_fma_f64 v[12:13], v[12:13], v[26:27], -v[14:15]
	s_waitcnt lgkmcnt(3)
	v_mul_f64 v[14:15], v[10:11], v[30:31]
	v_mul_f64 v[10:11], v[10:11], v[28:29]
	v_fmac_f64_e32 v[14:15], v[8:9], v[28:29]
	v_fma_f64 v[8:9], v[8:9], v[30:31], -v[10:11]
	;; [unrolled: 5-line block ×3, first 2 shown]
	s_waitcnt lgkmcnt(1)
	v_mul_f64 v[6:7], v[2:3], v[54:55]
	v_fmac_f64_e32 v[6:7], v[0:1], v[52:53]
	v_mul_f64 v[2:3], v[2:3], v[52:53]
	v_fma_f64 v[0:1], v[0:1], v[54:55], -v[2:3]
	s_waitcnt lgkmcnt(0)
	v_mul_f64 v[2:3], v[18:19], v[58:59]
	v_mul_f64 v[18:19], v[18:19], v[56:57]
	v_add_f64 v[24:25], v[14:15], v[6:7]
	s_mov_b32 s8, 0xe8584caa
	v_fmac_f64_e32 v[2:3], v[16:17], v[56:57]
	v_fma_f64 v[16:17], v[16:17], v[58:59], -v[18:19]
	v_add_f64 v[18:19], v[20:21], v[14:15]
	v_fmac_f64_e32 v[20:21], -0.5, v[24:25]
	v_add_f64 v[24:25], v[8:9], -v[0:1]
	s_mov_b32 s9, 0xbfebb67a
	s_mov_b32 s3, 0x3febb67a
	;; [unrolled: 1-line block ×3, first 2 shown]
	v_fma_f64 v[26:27], s[8:9], v[24:25], v[20:21]
	v_fmac_f64_e32 v[20:21], s[2:3], v[24:25]
	v_add_f64 v[24:25], v[22:23], v[8:9]
	v_add_f64 v[24:25], v[24:25], v[0:1]
	;; [unrolled: 1-line block ×3, first 2 shown]
	v_fmac_f64_e32 v[22:23], -0.5, v[0:1]
	v_add_f64 v[0:1], v[14:15], -v[6:7]
	v_fma_f64 v[28:29], s[2:3], v[0:1], v[22:23]
	v_fmac_f64_e32 v[22:23], s[8:9], v[0:1]
	v_add_f64 v[0:1], v[60:61], v[10:11]
	v_add_f64 v[14:15], v[0:1], v[2:3]
	;; [unrolled: 1-line block ×3, first 2 shown]
	v_fmac_f64_e32 v[60:61], -0.5, v[0:1]
	v_add_f64 v[0:1], v[4:5], -v[16:17]
	v_add_f64 v[18:19], v[18:19], v[6:7]
	v_fma_f64 v[6:7], s[8:9], v[0:1], v[60:61]
	v_fmac_f64_e32 v[60:61], s[2:3], v[0:1]
	v_add_f64 v[0:1], v[12:13], v[4:5]
	v_add_f64 v[30:31], v[0:1], v[16:17]
	;; [unrolled: 1-line block ×3, first 2 shown]
	v_fmac_f64_e32 v[12:13], -0.5, v[0:1]
	v_add_f64 v[0:1], v[10:11], -v[2:3]
	v_fma_f64 v[10:11], s[2:3], v[0:1], v[12:13]
	v_fmac_f64_e32 v[12:13], s[8:9], v[0:1]
	v_mul_f64 v[16:17], v[10:11], s[8:9]
	v_mul_f64 v[44:45], v[12:13], s[8:9]
	v_mul_f64 v[46:47], v[10:11], 0.5
	v_mul_f64 v[52:53], v[12:13], -0.5
	v_fmac_f64_e32 v[16:17], 0.5, v[6:7]
	v_fmac_f64_e32 v[44:45], -0.5, v[60:61]
	v_fmac_f64_e32 v[46:47], s[2:3], v[6:7]
	v_fmac_f64_e32 v[52:53], s[2:3], v[60:61]
	v_add_f64 v[0:1], v[18:19], v[14:15]
	v_add_f64 v[4:5], v[26:27], v[16:17]
	;; [unrolled: 1-line block ×6, first 2 shown]
	v_add_f64 v[12:13], v[18:19], -v[14:15]
	v_add_f64 v[16:17], v[26:27], -v[16:17]
	v_add_f64 v[20:21], v[20:21], -v[44:45]
	v_add_f64 v[14:15], v[24:25], -v[30:31]
	v_add_f64 v[18:19], v[28:29], -v[46:47]
	v_add_f64 v[22:23], v[22:23], -v[52:53]
	s_barrier
	ds_write_b128 v110, v[0:3]
	ds_write_b128 v110, v[4:7] offset:256
	ds_write_b128 v110, v[8:11] offset:512
	;; [unrolled: 1-line block ×5, first 2 shown]
	s_waitcnt lgkmcnt(0)
	s_barrier
	ds_read_b128 v[0:3], v105
	ds_read_b128 v[4:7], v105 offset:1536
	ds_read_b128 v[8:11], v105 offset:3072
	;; [unrolled: 1-line block ×5, first 2 shown]
	s_waitcnt lgkmcnt(4)
	v_mul_f64 v[24:25], v[50:51], v[6:7]
	v_fmac_f64_e32 v[24:25], v[48:49], v[4:5]
	v_mul_f64 v[4:5], v[50:51], v[4:5]
	v_fma_f64 v[26:27], v[48:49], v[6:7], -v[4:5]
	s_waitcnt lgkmcnt(3)
	v_mul_f64 v[4:5], v[42:43], v[10:11]
	v_mul_f64 v[6:7], v[42:43], v[8:9]
	v_fmac_f64_e32 v[4:5], v[40:41], v[8:9]
	v_fma_f64 v[6:7], v[40:41], v[10:11], -v[6:7]
	s_waitcnt lgkmcnt(2)
	v_mul_f64 v[8:9], v[38:39], v[14:15]
	v_mul_f64 v[10:11], v[38:39], v[12:13]
	v_fmac_f64_e32 v[8:9], v[36:37], v[12:13]
	v_fma_f64 v[10:11], v[36:37], v[14:15], -v[10:11]
	s_waitcnt lgkmcnt(1)
	v_mul_f64 v[12:13], v[34:35], v[18:19]
	v_mul_f64 v[14:15], v[34:35], v[16:17]
	v_fmac_f64_e32 v[12:13], v[32:33], v[16:17]
	v_fma_f64 v[14:15], v[32:33], v[18:19], -v[14:15]
	s_waitcnt lgkmcnt(0)
	v_mul_f64 v[18:19], v[66:67], v[20:21]
	v_mul_f64 v[16:17], v[66:67], v[22:23]
	v_fma_f64 v[18:19], v[64:65], v[22:23], -v[18:19]
	v_add_f64 v[22:23], v[4:5], v[12:13]
	v_fmac_f64_e32 v[16:17], v[64:65], v[20:21]
	v_add_f64 v[20:21], v[0:1], v[4:5]
	v_fmac_f64_e32 v[0:1], -0.5, v[22:23]
	v_add_f64 v[22:23], v[6:7], -v[14:15]
	v_fma_f64 v[28:29], s[8:9], v[22:23], v[0:1]
	v_fmac_f64_e32 v[0:1], s[2:3], v[22:23]
	v_add_f64 v[22:23], v[2:3], v[6:7]
	v_add_f64 v[6:7], v[6:7], v[14:15]
	v_fmac_f64_e32 v[2:3], -0.5, v[6:7]
	v_add_f64 v[4:5], v[4:5], -v[12:13]
	v_fma_f64 v[30:31], s[2:3], v[4:5], v[2:3]
	v_fmac_f64_e32 v[2:3], s[8:9], v[4:5]
	v_add_f64 v[4:5], v[24:25], v[8:9]
	v_add_f64 v[32:33], v[4:5], v[16:17]
	;; [unrolled: 1-line block ×3, first 2 shown]
	v_fmac_f64_e32 v[24:25], -0.5, v[4:5]
	v_add_f64 v[4:5], v[10:11], -v[18:19]
	v_add_f64 v[22:23], v[22:23], v[14:15]
	v_fma_f64 v[14:15], s[8:9], v[4:5], v[24:25]
	v_fmac_f64_e32 v[24:25], s[2:3], v[4:5]
	v_add_f64 v[4:5], v[26:27], v[10:11]
	v_add_f64 v[34:35], v[4:5], v[18:19]
	;; [unrolled: 1-line block ×3, first 2 shown]
	v_fmac_f64_e32 v[26:27], -0.5, v[4:5]
	v_add_f64 v[4:5], v[8:9], -v[16:17]
	v_fma_f64 v[10:11], s[2:3], v[4:5], v[26:27]
	v_fmac_f64_e32 v[26:27], s[8:9], v[4:5]
	v_add_f64 v[20:21], v[20:21], v[12:13]
	v_mul_f64 v[18:19], v[10:11], s[8:9]
	v_mul_f64 v[36:37], v[26:27], s[8:9]
	v_mul_f64 v[38:39], v[10:11], 0.5
	v_mul_f64 v[26:27], v[26:27], -0.5
	v_add_f64 v[4:5], v[20:21], v[32:33]
	v_fmac_f64_e32 v[18:19], 0.5, v[14:15]
	v_fmac_f64_e32 v[36:37], -0.5, v[24:25]
	v_add_f64 v[6:7], v[22:23], v[34:35]
	v_fmac_f64_e32 v[38:39], s[2:3], v[14:15]
	v_fmac_f64_e32 v[26:27], s[2:3], v[24:25]
	v_add_f64 v[8:9], v[28:29], v[18:19]
	v_add_f64 v[12:13], v[0:1], v[36:37]
	;; [unrolled: 1-line block ×4, first 2 shown]
	v_add_f64 v[16:17], v[20:21], -v[32:33]
	v_add_f64 v[20:21], v[28:29], -v[18:19]
	;; [unrolled: 1-line block ×6, first 2 shown]
	ds_write_b128 v105, v[4:7]
	ds_write_b128 v105, v[8:11] offset:1536
	ds_write_b128 v105, v[12:15] offset:3072
	;; [unrolled: 1-line block ×5, first 2 shown]
	s_waitcnt lgkmcnt(0)
	s_barrier
	s_and_b64 exec, exec, s[0:1]
	s_cbranch_execz .LBB0_15
; %bb.14:
	global_load_dwordx4 v[0:3], v105, s[14:15]
	global_load_dwordx4 v[4:7], v105, s[14:15] offset:576
	global_load_dwordx4 v[12:15], v105, s[14:15] offset:1152
	;; [unrolled: 1-line block ×4, first 2 shown]
	ds_read_b128 v[28:31], v105
	ds_read_b128 v[32:35], v105 offset:576
	ds_read_b128 v[36:39], v105 offset:1152
	;; [unrolled: 1-line block ×3, first 2 shown]
	global_load_dwordx4 v[16:19], v105, s[14:15] offset:2880
	global_load_dwordx4 v[44:47], v105, s[14:15] offset:3456
	;; [unrolled: 1-line block ×3, first 2 shown]
	v_mad_u64_u32 v[60:61], s[0:1], s6, v104, 0
	v_mov_b32_e32 v21, s15
	v_mad_u64_u32 v[62:63], s[2:3], s4, v108, 0
	v_add_co_u32_e32 v74, vcc, s14, v105
	s_movk_i32 s3, 0x1000
	v_mov_b32_e32 v20, v61
	v_addc_co_u32_e32 v75, vcc, 0, v21, vcc
	v_mov_b32_e32 v52, v63
	v_mad_u64_u32 v[54:55], s[6:7], s7, v104, v[20:21]
	v_add_co_u32_e32 v20, vcc, s3, v74
	v_mad_u64_u32 v[52:53], s[6:7], s5, v108, v[52:53]
	v_addc_co_u32_e32 v21, vcc, 0, v75, vcc
	v_mov_b32_e32 v61, v54
	v_mov_b32_e32 v63, v52
	global_load_dwordx4 v[52:55], v[20:21], off offset:512
	global_load_dwordx4 v[56:59], v[20:21], off offset:1088
	v_lshlrev_b64 v[60:61], 4, v[60:61]
	v_mov_b32_e32 v23, s13
	v_add_co_u32_e32 v60, vcc, s12, v60
	v_lshlrev_b64 v[62:63], 4, v[62:63]
	v_addc_co_u32_e32 v23, vcc, v23, v61, vcc
	v_add_co_u32_e32 v60, vcc, v60, v62
	v_mov_b32_e32 v22, 0x240
	v_addc_co_u32_e32 v61, vcc, v23, v63, vcc
	s_mov_b32 s0, 0x1c71c71c
	s_mul_i32 s2, s5, 0x240
	v_mad_u64_u32 v[62:63], s[6:7], s4, v22, v[60:61]
	s_mov_b32 s1, 0x3f5c71c7
	v_add_u32_e32 v63, s2, v63
	v_mad_u64_u32 v[64:65], s[6:7], s4, v22, v[62:63]
	v_add_u32_e32 v65, s2, v65
	s_movk_i32 s3, 0x2000
	s_waitcnt vmcnt(9) lgkmcnt(3)
	v_mul_f64 v[66:67], v[30:31], v[2:3]
	v_mul_f64 v[2:3], v[28:29], v[2:3]
	s_waitcnt vmcnt(8) lgkmcnt(2)
	v_mul_f64 v[68:69], v[34:35], v[6:7]
	s_waitcnt vmcnt(6) lgkmcnt(0)
	v_mul_f64 v[72:73], v[42:43], v[26:27]
	v_mul_f64 v[26:27], v[40:41], v[26:27]
	;; [unrolled: 1-line block ×5, first 2 shown]
	v_fmac_f64_e32 v[66:67], v[28:29], v[0:1]
	v_fma_f64 v[2:3], v[0:1], v[30:31], -v[2:3]
	v_fmac_f64_e32 v[72:73], v[40:41], v[24:25]
	v_fma_f64 v[30:31], v[24:25], v[42:43], -v[26:27]
	global_load_dwordx4 v[24:27], v[20:21], off offset:1664
	v_fmac_f64_e32 v[68:69], v[32:33], v[4:5]
	v_fma_f64 v[6:7], v[4:5], v[34:35], -v[6:7]
	v_fmac_f64_e32 v[70:71], v[36:37], v[12:13]
	v_fma_f64 v[14:15], v[12:13], v[38:39], -v[14:15]
	v_mul_f64 v[0:1], v[66:67], s[0:1]
	v_mul_f64 v[2:3], v[2:3], s[0:1]
	;; [unrolled: 1-line block ×6, first 2 shown]
	global_store_dwordx4 v[60:61], v[0:3], off
	global_store_dwordx4 v[62:63], v[4:7], off
	;; [unrolled: 1-line block ×3, first 2 shown]
	global_load_dwordx4 v[4:7], v[20:21], off offset:2240
	ds_read_b128 v[0:3], v105 offset:2304
	ds_read_b128 v[12:15], v105 offset:2880
	v_mad_u64_u32 v[32:33], s[6:7], s4, v22, v[64:65]
	v_mul_f64 v[28:29], v[72:73], s[0:1]
	v_mul_f64 v[30:31], v[30:31], s[0:1]
	v_add_u32_e32 v33, s2, v33
	global_store_dwordx4 v[32:33], v[28:31], off
	v_mad_u64_u32 v[32:33], s[6:7], s4, v22, v[32:33]
	s_waitcnt vmcnt(11) lgkmcnt(1)
	v_mul_f64 v[28:29], v[2:3], v[10:11]
	v_fmac_f64_e32 v[28:29], v[0:1], v[8:9]
	v_mul_f64 v[0:1], v[0:1], v[10:11]
	v_fma_f64 v[0:1], v[8:9], v[2:3], -v[0:1]
	v_mul_f64 v[30:31], v[0:1], s[0:1]
	v_add_u32_e32 v33, s2, v33
	s_waitcnt vmcnt(10) lgkmcnt(0)
	v_mul_f64 v[0:1], v[14:15], v[18:19]
	v_mul_f64 v[2:3], v[12:13], v[18:19]
	ds_read_b128 v[8:11], v105 offset:3456
	v_fmac_f64_e32 v[0:1], v[12:13], v[16:17]
	v_fma_f64 v[2:3], v[16:17], v[14:15], -v[2:3]
	v_mad_u64_u32 v[16:17], s[6:7], s4, v22, v[32:33]
	v_mul_f64 v[28:29], v[28:29], s[0:1]
	v_mul_f64 v[0:1], v[0:1], s[0:1]
	;; [unrolled: 1-line block ×3, first 2 shown]
	v_add_u32_e32 v17, s2, v17
	global_store_dwordx4 v[32:33], v[28:31], off
	global_store_dwordx4 v[16:17], v[0:3], off
	ds_read_b128 v[0:3], v105 offset:4032
	s_waitcnt vmcnt(11) lgkmcnt(1)
	v_mul_f64 v[12:13], v[10:11], v[46:47]
	v_fmac_f64_e32 v[12:13], v[8:9], v[44:45]
	v_mul_f64 v[8:9], v[8:9], v[46:47]
	v_fma_f64 v[8:9], v[44:45], v[10:11], -v[8:9]
	v_mul_f64 v[14:15], v[8:9], s[0:1]
	s_waitcnt vmcnt(10) lgkmcnt(0)
	v_mul_f64 v[8:9], v[2:3], v[50:51]
	v_fmac_f64_e32 v[8:9], v[0:1], v[48:49]
	v_mul_f64 v[0:1], v[0:1], v[50:51]
	v_mad_u64_u32 v[16:17], s[6:7], s4, v22, v[16:17]
	v_fma_f64 v[0:1], v[48:49], v[2:3], -v[0:1]
	v_mul_f64 v[12:13], v[12:13], s[0:1]
	v_add_u32_e32 v17, s2, v17
	v_mul_f64 v[10:11], v[0:1], s[0:1]
	ds_read_b128 v[0:3], v105 offset:4608
	global_store_dwordx4 v[16:17], v[12:15], off
	v_mad_u64_u32 v[16:17], s[6:7], s4, v22, v[16:17]
	v_mul_f64 v[8:9], v[8:9], s[0:1]
	v_add_u32_e32 v17, s2, v17
	global_store_dwordx4 v[16:17], v[8:11], off
	ds_read_b128 v[8:11], v105 offset:5184
	s_waitcnt vmcnt(11) lgkmcnt(1)
	v_mul_f64 v[12:13], v[2:3], v[54:55]
	v_fmac_f64_e32 v[12:13], v[0:1], v[52:53]
	v_mul_f64 v[0:1], v[0:1], v[54:55]
	v_fma_f64 v[0:1], v[52:53], v[2:3], -v[0:1]
	v_mul_f64 v[14:15], v[0:1], s[0:1]
	v_mad_u64_u32 v[16:17], s[6:7], s4, v22, v[16:17]
	s_waitcnt vmcnt(10) lgkmcnt(0)
	v_mul_f64 v[0:1], v[10:11], v[58:59]
	v_mul_f64 v[2:3], v[8:9], v[58:59]
	;; [unrolled: 1-line block ×3, first 2 shown]
	v_add_u32_e32 v17, s2, v17
	v_fmac_f64_e32 v[0:1], v[8:9], v[56:57]
	v_fma_f64 v[2:3], v[56:57], v[10:11], -v[2:3]
	ds_read_b128 v[8:11], v105 offset:5760
	global_store_dwordx4 v[16:17], v[12:15], off
	v_mad_u64_u32 v[16:17], s[6:7], s4, v22, v[16:17]
	v_mul_f64 v[0:1], v[0:1], s[0:1]
	v_mul_f64 v[2:3], v[2:3], s[0:1]
	v_add_u32_e32 v17, s2, v17
	global_store_dwordx4 v[16:17], v[0:3], off
	ds_read_b128 v[0:3], v105 offset:6336
	s_waitcnt vmcnt(11) lgkmcnt(1)
	v_mul_f64 v[12:13], v[10:11], v[26:27]
	v_fmac_f64_e32 v[12:13], v[8:9], v[24:25]
	v_mul_f64 v[8:9], v[8:9], v[26:27]
	v_fma_f64 v[8:9], v[24:25], v[10:11], -v[8:9]
	v_mul_f64 v[14:15], v[8:9], s[0:1]
	v_mad_u64_u32 v[16:17], s[6:7], s4, v22, v[16:17]
	s_waitcnt vmcnt(7) lgkmcnt(0)
	v_mul_f64 v[8:9], v[2:3], v[6:7]
	v_mul_f64 v[12:13], v[12:13], s[0:1]
	v_add_u32_e32 v17, s2, v17
	v_fmac_f64_e32 v[8:9], v[0:1], v[4:5]
	v_mul_f64 v[0:1], v[0:1], v[6:7]
	global_store_dwordx4 v[16:17], v[12:15], off
	v_fma_f64 v[0:1], v[4:5], v[2:3], -v[0:1]
	v_mad_u64_u32 v[16:17], s[6:7], s4, v22, v[16:17]
	v_mul_f64 v[8:9], v[8:9], s[0:1]
	v_mul_f64 v[10:11], v[0:1], s[0:1]
	v_add_u32_e32 v17, s2, v17
	global_store_dwordx4 v[16:17], v[8:11], off
	global_load_dwordx4 v[0:3], v[20:21], off offset:2816
	ds_read_b128 v[4:7], v105 offset:6912
	ds_read_b128 v[8:11], v105 offset:7488
	s_waitcnt vmcnt(0) lgkmcnt(1)
	v_mul_f64 v[12:13], v[6:7], v[2:3]
	v_mul_f64 v[2:3], v[4:5], v[2:3]
	v_fmac_f64_e32 v[12:13], v[4:5], v[0:1]
	v_fma_f64 v[0:1], v[0:1], v[6:7], -v[2:3]
	v_mad_u64_u32 v[4:5], s[6:7], s4, v22, v[16:17]
	v_mul_f64 v[12:13], v[12:13], s[0:1]
	v_mul_f64 v[14:15], v[0:1], s[0:1]
	v_add_u32_e32 v5, s2, v5
	global_store_dwordx4 v[4:5], v[12:15], off
	global_load_dwordx4 v[0:3], v[20:21], off offset:3392
	v_mad_u64_u32 v[12:13], s[6:7], s4, v22, v[4:5]
	v_add_u32_e32 v13, s2, v13
	v_add_co_u32_e32 v14, vcc, s3, v74
	v_addc_co_u32_e32 v15, vcc, 0, v75, vcc
	s_waitcnt vmcnt(0) lgkmcnt(0)
	v_mul_f64 v[4:5], v[10:11], v[2:3]
	v_mul_f64 v[2:3], v[8:9], v[2:3]
	v_fmac_f64_e32 v[4:5], v[8:9], v[0:1]
	v_fma_f64 v[2:3], v[0:1], v[10:11], -v[2:3]
	v_mul_f64 v[0:1], v[4:5], s[0:1]
	v_mul_f64 v[2:3], v[2:3], s[0:1]
	global_store_dwordx4 v[12:13], v[0:3], off
	global_load_dwordx4 v[0:3], v[20:21], off offset:3968
	ds_read_b128 v[4:7], v105 offset:8064
	ds_read_b128 v[8:11], v105 offset:8640
	v_mad_u64_u32 v[12:13], s[6:7], s4, v22, v[12:13]
	v_add_u32_e32 v13, s2, v13
	s_waitcnt vmcnt(0) lgkmcnt(1)
	v_mul_f64 v[16:17], v[6:7], v[2:3]
	v_mul_f64 v[2:3], v[4:5], v[2:3]
	v_fmac_f64_e32 v[16:17], v[4:5], v[0:1]
	v_fma_f64 v[2:3], v[0:1], v[6:7], -v[2:3]
	v_mul_f64 v[0:1], v[16:17], s[0:1]
	v_mul_f64 v[2:3], v[2:3], s[0:1]
	global_store_dwordx4 v[12:13], v[0:3], off
	global_load_dwordx4 v[0:3], v[14:15], off offset:448
	v_mad_u64_u32 v[4:5], s[4:5], s4, v22, v[12:13]
	v_add_u32_e32 v5, s2, v5
	s_waitcnt vmcnt(0) lgkmcnt(0)
	v_mul_f64 v[6:7], v[10:11], v[2:3]
	v_mul_f64 v[2:3], v[8:9], v[2:3]
	v_fmac_f64_e32 v[6:7], v[8:9], v[0:1]
	v_fma_f64 v[2:3], v[0:1], v[10:11], -v[2:3]
	v_mul_f64 v[0:1], v[6:7], s[0:1]
	v_mul_f64 v[2:3], v[2:3], s[0:1]
	global_store_dwordx4 v[4:5], v[0:3], off
.LBB0_15:
	s_endpgm
	.section	.rodata,"a",@progbits
	.p2align	6, 0x0
	.amdhsa_kernel bluestein_single_back_len576_dim1_dp_op_CI_CI
		.amdhsa_group_segment_fixed_size 9216
		.amdhsa_private_segment_fixed_size 0
		.amdhsa_kernarg_size 104
		.amdhsa_user_sgpr_count 6
		.amdhsa_user_sgpr_private_segment_buffer 1
		.amdhsa_user_sgpr_dispatch_ptr 0
		.amdhsa_user_sgpr_queue_ptr 0
		.amdhsa_user_sgpr_kernarg_segment_ptr 1
		.amdhsa_user_sgpr_dispatch_id 0
		.amdhsa_user_sgpr_flat_scratch_init 0
		.amdhsa_user_sgpr_kernarg_preload_length 0
		.amdhsa_user_sgpr_kernarg_preload_offset 0
		.amdhsa_user_sgpr_private_segment_size 0
		.amdhsa_uses_dynamic_stack 0
		.amdhsa_system_sgpr_private_segment_wavefront_offset 0
		.amdhsa_system_sgpr_workgroup_id_x 1
		.amdhsa_system_sgpr_workgroup_id_y 0
		.amdhsa_system_sgpr_workgroup_id_z 0
		.amdhsa_system_sgpr_workgroup_info 0
		.amdhsa_system_vgpr_workitem_id 0
		.amdhsa_next_free_vgpr 160
		.amdhsa_next_free_sgpr 24
		.amdhsa_accum_offset 160
		.amdhsa_reserve_vcc 1
		.amdhsa_reserve_flat_scratch 0
		.amdhsa_float_round_mode_32 0
		.amdhsa_float_round_mode_16_64 0
		.amdhsa_float_denorm_mode_32 3
		.amdhsa_float_denorm_mode_16_64 3
		.amdhsa_dx10_clamp 1
		.amdhsa_ieee_mode 1
		.amdhsa_fp16_overflow 0
		.amdhsa_tg_split 0
		.amdhsa_exception_fp_ieee_invalid_op 0
		.amdhsa_exception_fp_denorm_src 0
		.amdhsa_exception_fp_ieee_div_zero 0
		.amdhsa_exception_fp_ieee_overflow 0
		.amdhsa_exception_fp_ieee_underflow 0
		.amdhsa_exception_fp_ieee_inexact 0
		.amdhsa_exception_int_div_zero 0
	.end_amdhsa_kernel
	.text
.Lfunc_end0:
	.size	bluestein_single_back_len576_dim1_dp_op_CI_CI, .Lfunc_end0-bluestein_single_back_len576_dim1_dp_op_CI_CI
                                        ; -- End function
	.section	.AMDGPU.csdata,"",@progbits
; Kernel info:
; codeLenInByte = 9408
; NumSgprs: 28
; NumVgprs: 160
; NumAgprs: 0
; TotalNumVgprs: 160
; ScratchSize: 0
; MemoryBound: 0
; FloatMode: 240
; IeeeMode: 1
; LDSByteSize: 9216 bytes/workgroup (compile time only)
; SGPRBlocks: 3
; VGPRBlocks: 19
; NumSGPRsForWavesPerEU: 28
; NumVGPRsForWavesPerEU: 160
; AccumOffset: 160
; Occupancy: 3
; WaveLimiterHint : 1
; COMPUTE_PGM_RSRC2:SCRATCH_EN: 0
; COMPUTE_PGM_RSRC2:USER_SGPR: 6
; COMPUTE_PGM_RSRC2:TRAP_HANDLER: 0
; COMPUTE_PGM_RSRC2:TGID_X_EN: 1
; COMPUTE_PGM_RSRC2:TGID_Y_EN: 0
; COMPUTE_PGM_RSRC2:TGID_Z_EN: 0
; COMPUTE_PGM_RSRC2:TIDIG_COMP_CNT: 0
; COMPUTE_PGM_RSRC3_GFX90A:ACCUM_OFFSET: 39
; COMPUTE_PGM_RSRC3_GFX90A:TG_SPLIT: 0
	.text
	.p2alignl 6, 3212836864
	.fill 256, 4, 3212836864
	.type	__hip_cuid_9397a56b1133844f,@object ; @__hip_cuid_9397a56b1133844f
	.section	.bss,"aw",@nobits
	.globl	__hip_cuid_9397a56b1133844f
__hip_cuid_9397a56b1133844f:
	.byte	0                               ; 0x0
	.size	__hip_cuid_9397a56b1133844f, 1

	.ident	"AMD clang version 19.0.0git (https://github.com/RadeonOpenCompute/llvm-project roc-6.4.0 25133 c7fe45cf4b819c5991fe208aaa96edf142730f1d)"
	.section	".note.GNU-stack","",@progbits
	.addrsig
	.addrsig_sym __hip_cuid_9397a56b1133844f
	.amdgpu_metadata
---
amdhsa.kernels:
  - .agpr_count:     0
    .args:
      - .actual_access:  read_only
        .address_space:  global
        .offset:         0
        .size:           8
        .value_kind:     global_buffer
      - .actual_access:  read_only
        .address_space:  global
        .offset:         8
        .size:           8
        .value_kind:     global_buffer
      - .actual_access:  read_only
        .address_space:  global
        .offset:         16
        .size:           8
        .value_kind:     global_buffer
      - .actual_access:  read_only
        .address_space:  global
        .offset:         24
        .size:           8
        .value_kind:     global_buffer
      - .actual_access:  read_only
        .address_space:  global
        .offset:         32
        .size:           8
        .value_kind:     global_buffer
      - .offset:         40
        .size:           8
        .value_kind:     by_value
      - .address_space:  global
        .offset:         48
        .size:           8
        .value_kind:     global_buffer
      - .address_space:  global
        .offset:         56
        .size:           8
        .value_kind:     global_buffer
      - .address_space:  global
        .offset:         64
        .size:           8
        .value_kind:     global_buffer
      - .address_space:  global
        .offset:         72
        .size:           8
        .value_kind:     global_buffer
      - .offset:         80
        .size:           4
        .value_kind:     by_value
      - .address_space:  global
        .offset:         88
        .size:           8
        .value_kind:     global_buffer
      - .address_space:  global
        .offset:         96
        .size:           8
        .value_kind:     global_buffer
    .group_segment_fixed_size: 9216
    .kernarg_segment_align: 8
    .kernarg_segment_size: 104
    .language:       OpenCL C
    .language_version:
      - 2
      - 0
    .max_flat_workgroup_size: 96
    .name:           bluestein_single_back_len576_dim1_dp_op_CI_CI
    .private_segment_fixed_size: 0
    .sgpr_count:     28
    .sgpr_spill_count: 0
    .symbol:         bluestein_single_back_len576_dim1_dp_op_CI_CI.kd
    .uniform_work_group_size: 1
    .uses_dynamic_stack: false
    .vgpr_count:     160
    .vgpr_spill_count: 0
    .wavefront_size: 64
amdhsa.target:   amdgcn-amd-amdhsa--gfx90a
amdhsa.version:
  - 1
  - 2
...

	.end_amdgpu_metadata
